;; amdgpu-corpus repo=ROCm/rocFFT kind=compiled arch=gfx1201 opt=O3
	.text
	.amdgcn_target "amdgcn-amd-amdhsa--gfx1201"
	.amdhsa_code_object_version 6
	.protected	bluestein_single_fwd_len490_dim1_sp_op_CI_CI ; -- Begin function bluestein_single_fwd_len490_dim1_sp_op_CI_CI
	.globl	bluestein_single_fwd_len490_dim1_sp_op_CI_CI
	.p2align	8
	.type	bluestein_single_fwd_len490_dim1_sp_op_CI_CI,@function
bluestein_single_fwd_len490_dim1_sp_op_CI_CI: ; @bluestein_single_fwd_len490_dim1_sp_op_CI_CI
; %bb.0:
	s_load_b128 s[4:7], s[0:1], 0x28
	v_mul_u32_u24_e32 v1, 0x3a9, v0
	s_mov_b32 s2, exec_lo
	s_delay_alu instid0(VALU_DEP_1) | instskip(NEXT) | instid1(VALU_DEP_1)
	v_lshrrev_b32_e32 v1, 16, v1
	v_mad_co_u64_u32 v[44:45], null, ttmp9, 3, v[1:2]
	v_mov_b32_e32 v45, 0
	s_wait_kmcnt 0x0
	s_delay_alu instid0(VALU_DEP_1)
	v_cmpx_gt_u64_e64 s[4:5], v[44:45]
	s_cbranch_execz .LBB0_15
; %bb.1:
	v_mul_hi_u32 v2, 0xaaaaaaab, v44
	s_clause 0x1
	s_load_b64 s[8:9], s[0:1], 0x0
	s_load_b64 s[4:5], s[0:1], 0x38
	v_mul_lo_u16 v1, 0x46, v1
	s_delay_alu instid0(VALU_DEP_1) | instskip(NEXT) | instid1(VALU_DEP_3)
	v_sub_nc_u16 v0, v0, v1
	v_lshrrev_b32_e32 v2, 1, v2
	s_delay_alu instid0(VALU_DEP_2) | instskip(NEXT) | instid1(VALU_DEP_2)
	v_and_b32_e32 v45, 0xffff, v0
	v_lshl_add_u32 v2, v2, 1, v2
	v_cmp_gt_u16_e32 vcc_lo, 49, v0
	s_delay_alu instid0(VALU_DEP_3) | instskip(NEXT) | instid1(VALU_DEP_3)
	v_lshlrev_b32_e32 v46, 3, v45
	v_sub_nc_u32_e32 v1, v44, v2
	s_delay_alu instid0(VALU_DEP_1) | instskip(NEXT) | instid1(VALU_DEP_1)
	v_mul_u32_u24_e32 v28, 0x1ea, v1
	v_lshlrev_b32_e32 v47, 3, v28
	s_and_saveexec_b32 s3, vcc_lo
	s_cbranch_execz .LBB0_3
; %bb.2:
	s_load_b64 s[10:11], s[0:1], 0x18
	s_delay_alu instid0(VALU_DEP_1) | instskip(SKIP_1) | instid1(VALU_DEP_2)
	v_add_nc_u32_e32 v43, v47, v46
	v_lshl_add_u32 v48, v45, 3, v47
	v_add_nc_u32_e32 v50, 0x800, v43
	s_wait_kmcnt 0x0
	s_load_b128 s[12:15], s[10:11], 0x0
	s_wait_kmcnt 0x0
	v_mad_co_u64_u32 v[0:1], null, s14, v44, 0
	v_mad_co_u64_u32 v[2:3], null, s12, v45, 0
	s_delay_alu instid0(VALU_DEP_1) | instskip(NEXT) | instid1(VALU_DEP_1)
	v_mad_co_u64_u32 v[4:5], null, s15, v44, v[1:2]
	v_mad_co_u64_u32 v[5:6], null, s13, v45, v[3:4]
	v_mov_b32_e32 v1, v4
	s_delay_alu instid0(VALU_DEP_1) | instskip(NEXT) | instid1(VALU_DEP_3)
	v_lshlrev_b64_e32 v[0:1], 3, v[0:1]
	v_mov_b32_e32 v3, v5
	s_clause 0x3
	global_load_b64 v[4:5], v46, s[8:9]
	global_load_b64 v[6:7], v46, s[8:9] offset:392
	global_load_b64 v[8:9], v46, s[8:9] offset:784
	global_load_b64 v[10:11], v46, s[8:9] offset:1176
	v_add_co_u32 v0, s2, s6, v0
	v_lshlrev_b64_e32 v[2:3], 3, v[2:3]
	v_add_co_ci_u32_e64 v1, s2, s7, v1, s2
	s_mul_u64 s[6:7], s[12:13], 0x188
	s_delay_alu instid0(VALU_DEP_2) | instskip(SKIP_1) | instid1(VALU_DEP_2)
	v_add_co_u32 v0, s2, v0, v2
	s_wait_alu 0xf1ff
	v_add_co_ci_u32_e64 v1, s2, v1, v3, s2
	s_wait_alu 0xfffe
	s_delay_alu instid0(VALU_DEP_2) | instskip(SKIP_1) | instid1(VALU_DEP_2)
	v_add_co_u32 v2, s2, v0, s6
	s_wait_alu 0xf1ff
	v_add_co_ci_u32_e64 v3, s2, s7, v1, s2
	global_load_b64 v[0:1], v[0:1], off
	v_add_co_u32 v12, s2, v2, s6
	s_wait_alu 0xf1ff
	v_add_co_ci_u32_e64 v13, s2, s7, v3, s2
	s_clause 0x3
	global_load_b64 v[16:17], v46, s[8:9] offset:1568
	global_load_b64 v[18:19], v46, s[8:9] offset:1960
	;; [unrolled: 1-line block ×4, first 2 shown]
	v_add_co_u32 v14, s2, v12, s6
	s_wait_alu 0xf1ff
	v_add_co_ci_u32_e64 v15, s2, s7, v13, s2
	s_delay_alu instid0(VALU_DEP_2) | instskip(SKIP_1) | instid1(VALU_DEP_2)
	v_add_co_u32 v24, s2, v14, s6
	s_wait_alu 0xf1ff
	v_add_co_ci_u32_e64 v25, s2, s7, v15, s2
	s_clause 0x2
	global_load_b64 v[2:3], v[2:3], off
	global_load_b64 v[12:13], v[12:13], off
	global_load_b64 v[14:15], v[14:15], off
	v_add_co_u32 v26, s2, v24, s6
	s_wait_alu 0xf1ff
	v_add_co_ci_u32_e64 v27, s2, s7, v25, s2
	global_load_b64 v[24:25], v[24:25], off
	v_add_co_u32 v29, s2, v26, s6
	s_wait_alu 0xf1ff
	v_add_co_ci_u32_e64 v30, s2, s7, v27, s2
	global_load_b64 v[26:27], v[26:27], off
	;; [unrolled: 4-line block ×5, first 2 shown]
	s_clause 0x1
	global_load_b64 v[37:38], v46, s[8:9] offset:3136
	global_load_b64 v[39:40], v46, s[8:9] offset:3528
	global_load_b64 v[35:36], v[35:36], off
	s_wait_loadcnt 0xf
	v_mul_f32_e32 v41, v1, v5
	v_mul_f32_e32 v5, v0, v5
	s_delay_alu instid0(VALU_DEP_2) | instskip(NEXT) | instid1(VALU_DEP_2)
	v_fmac_f32_e32 v41, v0, v4
	v_fma_f32 v42, v1, v4, -v5
	s_wait_loadcnt 0xa
	v_mul_f32_e32 v0, v3, v7
	s_wait_loadcnt 0x9
	v_dual_mul_f32 v1, v2, v7 :: v_dual_mul_f32 v4, v13, v9
	s_wait_loadcnt 0x8
	v_mul_f32_e32 v7, v14, v11
	v_dual_fmac_f32 v0, v2, v6 :: v_dual_add_nc_u32 v49, 0x400, v43
	s_delay_alu instid0(VALU_DEP_3)
	v_fma_f32 v1, v3, v6, -v1
	v_fmac_f32_e32 v4, v12, v8
	v_dual_mul_f32 v2, v15, v11 :: v_dual_mul_f32 v3, v12, v9
	s_wait_loadcnt 0x7
	v_mul_f32_e32 v9, v24, v17
	v_mul_f32_e32 v6, v25, v17
	ds_store_b64 v48, v[41:42]
	v_fmac_f32_e32 v2, v14, v10
	v_fma_f32 v5, v13, v8, -v3
	s_wait_loadcnt 0x6
	v_mul_f32_e32 v8, v27, v19
	v_fma_f32 v3, v15, v10, -v7
	v_fma_f32 v7, v25, v16, -v9
	s_wait_loadcnt 0x5
	v_mul_f32_e32 v10, v30, v21
	v_dual_mul_f32 v11, v29, v21 :: v_dual_fmac_f32 v8, v26, v18
	v_fmac_f32_e32 v6, v24, v16
	s_wait_loadcnt 0x4
	v_mul_f32_e32 v12, v32, v23
	v_dual_mul_f32 v13, v31, v23 :: v_dual_fmac_f32 v10, v29, v20
	s_wait_loadcnt 0x2
	v_mul_f32_e32 v15, v33, v38
	s_delay_alu instid0(VALU_DEP_3) | instskip(SKIP_3) | instid1(VALU_DEP_3)
	v_dual_mul_f32 v9, v26, v19 :: v_dual_fmac_f32 v12, v31, v22
	s_wait_loadcnt 0x0
	v_dual_mul_f32 v14, v34, v38 :: v_dual_mul_f32 v17, v35, v40
	v_mul_f32_e32 v16, v36, v40
	v_fma_f32 v9, v27, v18, -v9
	v_fma_f32 v11, v30, v20, -v11
	;; [unrolled: 1-line block ×3, first 2 shown]
	v_fmac_f32_e32 v14, v33, v37
	v_fma_f32 v15, v34, v37, -v15
	v_fmac_f32_e32 v16, v35, v39
	v_fma_f32 v17, v36, v39, -v17
	ds_store_2addr_b64 v43, v[0:1], v[4:5] offset0:49 offset1:98
	ds_store_2addr_b64 v43, v[2:3], v[6:7] offset0:147 offset1:196
	;; [unrolled: 1-line block ×4, first 2 shown]
	ds_store_b64 v43, v[16:17] offset:3528
.LBB0_3:
	s_or_b32 exec_lo, exec_lo, s3
	s_clause 0x1
	s_load_b64 s[2:3], s[0:1], 0x20
	s_load_b64 s[6:7], s[0:1], 0x8
	global_wb scope:SCOPE_SE
	s_wait_dscnt 0x0
	s_wait_kmcnt 0x0
	s_barrier_signal -1
	s_barrier_wait -1
	global_inv scope:SCOPE_SE
                                        ; implicit-def: $vgpr18
                                        ; implicit-def: $vgpr14
                                        ; implicit-def: $vgpr8
                                        ; implicit-def: $vgpr20
                                        ; implicit-def: $vgpr26
	s_and_saveexec_b32 s0, vcc_lo
	s_cbranch_execz .LBB0_5
; %bb.4:
	v_lshl_add_u32 v0, v28, 3, v46
	s_delay_alu instid0(VALU_DEP_1)
	v_add_nc_u32_e32 v1, 0x800, v0
	ds_load_2addr_b64 v[24:27], v0 offset1:49
	ds_load_2addr_b64 v[16:19], v0 offset0:98 offset1:147
	ds_load_2addr_b64 v[12:15], v0 offset0:196 offset1:245
	;; [unrolled: 1-line block ×4, first 2 shown]
.LBB0_5:
	s_wait_alu 0xfffe
	s_or_b32 exec_lo, exec_lo, s0
	s_wait_dscnt 0x1
	v_dual_add_f32 v0, v8, v12 :: v_dual_sub_f32 v35, v13, v9
	s_wait_dscnt 0x0
	v_add_f32_e32 v2, v20, v16
	v_dual_sub_f32 v34, v17, v21 :: v_dual_sub_f32 v3, v16, v12
	s_delay_alu instid0(VALU_DEP_3) | instskip(SKIP_1) | instid1(VALU_DEP_4)
	v_fma_f32 v1, -0.5, v0, v24
	v_dual_add_f32 v6, v9, v13 :: v_dual_sub_f32 v39, v12, v8
	v_fma_f32 v29, -0.5, v2, v24
	v_sub_f32_e32 v2, v8, v20
	s_delay_alu instid0(VALU_DEP_4) | instskip(NEXT) | instid1(VALU_DEP_4)
	v_dual_sub_f32 v5, v12, v16 :: v_dual_fmamk_f32 v0, v34, 0xbf737871, v1
	v_fma_f32 v37, -0.5, v6, v25
	s_delay_alu instid0(VALU_DEP_4)
	v_fmamk_f32 v30, v35, 0xbf737871, v29
	v_dual_fmac_f32 v29, 0x3f737871, v35 :: v_dual_sub_f32 v4, v20, v8
	global_wb scope:SCOPE_SE
	s_barrier_signal -1
	s_barrier_wait -1
	v_dual_fmac_f32 v29, 0xbf167918, v34 :: v_dual_add_f32 v36, v4, v3
	v_add_f32_e32 v3, v21, v17
	v_dual_sub_f32 v51, v19, v23 :: v_dual_sub_f32 v56, v14, v10
	v_sub_f32_e32 v6, v14, v18
	global_inv scope:SCOPE_SE
	v_fma_f32 v32, -0.5, v3, v25
	v_dual_sub_f32 v38, v16, v20 :: v_dual_sub_f32 v3, v9, v21
	v_dual_fmac_f32 v30, 0x3f167918, v34 :: v_dual_sub_f32 v49, v15, v11
	s_delay_alu instid0(VALU_DEP_3) | instskip(SKIP_1) | instid1(VALU_DEP_4)
	v_fmamk_f32 v33, v39, 0x3f737871, v32
	v_fmac_f32_e32 v0, 0xbf167918, v35
	v_dual_sub_f32 v4, v17, v13 :: v_dual_fmamk_f32 v31, v38, 0x3f737871, v37
	v_add_f32_e32 v2, v2, v5
	v_sub_f32_e32 v5, v21, v9
	v_fmac_f32_e32 v33, 0xbf167918, v38
	v_sub_f32_e32 v7, v10, v22
	v_fmac_f32_e32 v31, 0x3f167918, v39
	v_dual_fmac_f32 v0, 0x3e9e377a, v36 :: v_dual_fmac_f32 v29, 0x3e9e377a, v2
	v_add_f32_e32 v40, v5, v4
	v_fmac_f32_e32 v30, 0x3e9e377a, v2
	v_dual_sub_f32 v2, v13, v17 :: v_dual_sub_f32 v5, v22, v10
	v_add_f32_e32 v4, v14, v10
	v_add_f32_e32 v6, v6, v7
	;; [unrolled: 1-line block ×3, first 2 shown]
	s_delay_alu instid0(VALU_DEP_4)
	v_add_f32_e32 v2, v3, v2
	v_add_f32_e32 v3, v18, v22
	v_fma_f32 v41, -0.5, v4, v26
	v_sub_f32_e32 v4, v18, v14
	v_fmac_f32_e32 v32, 0xbf737871, v39
	v_sub_f32_e32 v42, v15, v19
	v_fma_f32 v3, -0.5, v3, v26
	v_fma_f32 v57, -0.5, v7, v27
	s_delay_alu instid0(VALU_DEP_4) | instskip(NEXT) | instid1(VALU_DEP_3)
	v_dual_add_f32 v43, v4, v5 :: v_dual_fmac_f32 v32, 0x3f167918, v38
	v_dual_add_f32 v5, v19, v23 :: v_dual_fmamk_f32 v4, v49, 0xbf737871, v3
	v_fmac_f32_e32 v3, 0x3f737871, v49
	v_fmac_f32_e32 v33, 0x3e9e377a, v2
	;; [unrolled: 1-line block ×3, first 2 shown]
	s_delay_alu instid0(VALU_DEP_4) | instskip(NEXT) | instid1(VALU_DEP_4)
	v_fma_f32 v5, -0.5, v5, v27
	v_fmac_f32_e32 v3, 0xbf167918, v51
	v_sub_f32_e32 v48, v11, v23
	v_fmac_f32_e32 v32, 0x3e9e377a, v2
	s_delay_alu instid0(VALU_DEP_4) | instskip(SKIP_1) | instid1(VALU_DEP_4)
	v_fmamk_f32 v50, v56, 0x3f737871, v5
	v_fmac_f32_e32 v5, 0xbf737871, v56
	v_add_f32_e32 v7, v42, v48
	v_sub_f32_e32 v58, v18, v22
	v_fmac_f32_e32 v4, 0x3f167918, v51
	v_sub_f32_e32 v42, v19, v15
	v_sub_f32_e32 v48, v23, v11
	v_fmamk_f32 v2, v51, 0xbf737871, v41
	v_fmac_f32_e32 v5, 0x3f167918, v58
	s_delay_alu instid0(VALU_DEP_2) | instskip(NEXT) | instid1(VALU_DEP_2)
	v_dual_add_f32 v59, v42, v48 :: v_dual_fmac_f32 v2, 0xbf167918, v49
	v_fmac_f32_e32 v5, 0x3e9e377a, v7
	v_fmamk_f32 v54, v58, 0x3f737871, v57
	v_fmac_f32_e32 v50, 0xbf167918, v58
	s_delay_alu instid0(VALU_DEP_2) | instskip(NEXT) | instid1(VALU_DEP_2)
	v_fmac_f32_e32 v54, 0x3f167918, v56
	v_fmac_f32_e32 v50, 0x3e9e377a, v7
	v_fmac_f32_e32 v2, 0x3e9e377a, v43
	s_delay_alu instid0(VALU_DEP_3) | instskip(NEXT) | instid1(VALU_DEP_3)
	v_fmac_f32_e32 v54, 0x3e9e377a, v59
	v_mul_f32_e32 v42, 0x3f737871, v50
	s_delay_alu instid0(VALU_DEP_3) | instskip(SKIP_1) | instid1(VALU_DEP_4)
	v_mul_f32_e32 v7, 0x3f4f1bbd, v2
	v_fmac_f32_e32 v3, 0x3e9e377a, v6
	v_mul_f32_e32 v55, 0x3f4f1bbd, v54
	s_delay_alu instid0(VALU_DEP_3) | instskip(NEXT) | instid1(VALU_DEP_2)
	v_fma_f32 v48, 0x3f167918, v54, -v7
	v_fma_f32 v55, 0xbf167918, v2, -v55
	v_fmac_f32_e32 v4, 0x3e9e377a, v6
	v_mul_f32_e32 v6, 0x3e9e377a, v3
	s_delay_alu instid0(VALU_DEP_2) | instskip(SKIP_2) | instid1(VALU_DEP_4)
	v_dual_sub_f32 v7, v31, v55 :: v_dual_fmac_f32 v42, 0x3e9e377a, v4
	v_mul_f32_e32 v53, 0xbf737871, v4
	v_mul_f32_e32 v4, 0x3e9e377a, v5
	v_fma_f32 v52, 0x3f737871, v5, -v6
	v_sub_f32_e32 v6, v0, v48
	v_sub_f32_e32 v2, v30, v42
	v_fmac_f32_e32 v53, 0x3e9e377a, v50
	v_fma_f32 v54, 0xbf737871, v3, -v4
	v_sub_f32_e32 v4, v29, v52
	v_mul_lo_u16 v50, v45, 10
	s_delay_alu instid0(VALU_DEP_4) | instskip(NEXT) | instid1(VALU_DEP_4)
	v_sub_f32_e32 v3, v33, v53
	v_sub_f32_e32 v5, v32, v54
	s_and_saveexec_b32 s0, vcc_lo
	s_cbranch_execz .LBB0_7
; %bb.6:
	v_dual_add_f32 v19, v19, v27 :: v_dual_mul_f32 v34, 0x3f737871, v34
	v_dual_mul_f32 v51, 0x3f737871, v51 :: v_dual_mul_f32 v38, 0x3f737871, v38
	v_dual_mul_f32 v39, 0x3f167918, v39 :: v_dual_add_f32 v16, v16, v24
	s_delay_alu instid0(VALU_DEP_3) | instskip(NEXT) | instid1(VALU_DEP_3)
	v_add_f32_e32 v15, v15, v19
	v_dual_add_f32 v41, v51, v41 :: v_dual_mul_f32 v40, 0x3e9e377a, v40
	s_delay_alu instid0(VALU_DEP_4) | instskip(SKIP_1) | instid1(VALU_DEP_4)
	v_sub_f32_e32 v37, v37, v38
	v_dual_mul_f32 v43, 0x3e9e377a, v43 :: v_dual_mul_f32 v36, 0x3e9e377a, v36
	v_add_f32_e32 v11, v11, v15
	v_add_f32_e32 v17, v17, v25
	;; [unrolled: 1-line block ×4, first 2 shown]
	v_dual_add_f32 v12, v12, v16 :: v_dual_sub_f32 v37, v37, v39
	s_delay_alu instid0(VALU_DEP_4) | instskip(NEXT) | instid1(VALU_DEP_2)
	v_add_f32_e32 v13, v13, v17
	v_dual_add_f32 v17, v18, v26 :: v_dual_add_f32 v8, v8, v12
	s_delay_alu instid0(VALU_DEP_3) | instskip(NEXT) | instid1(VALU_DEP_3)
	v_add_f32_e32 v25, v40, v37
	v_add_f32_e32 v9, v9, v13
	v_mul_f32_e32 v51, 0x3f167918, v56
	s_delay_alu instid0(VALU_DEP_4) | instskip(SKIP_1) | instid1(VALU_DEP_4)
	v_dual_add_f32 v13, v14, v17 :: v_dual_add_f32 v12, v23, v11
	v_add_f32_e32 v8, v20, v8
	v_add_f32_e32 v14, v21, v9
	v_mul_f32_e32 v49, 0x3f167918, v49
	s_delay_alu instid0(VALU_DEP_4) | instskip(SKIP_1) | instid1(VALU_DEP_4)
	v_dual_mul_f32 v58, 0x3f737871, v58 :: v_dual_add_f32 v9, v10, v13
	v_add_f32_e32 v13, v33, v53
	v_add_f32_e32 v17, v12, v14
	s_delay_alu instid0(VALU_DEP_4) | instskip(NEXT) | instid1(VALU_DEP_4)
	v_add_f32_e32 v41, v49, v41
	v_dual_mul_f32 v35, 0x3f167918, v35 :: v_dual_sub_f32 v38, v57, v58
	v_dual_mul_f32 v49, 0x3e9e377a, v59 :: v_dual_add_f32 v16, v22, v9
	s_delay_alu instid0(VALU_DEP_3) | instskip(NEXT) | instid1(VALU_DEP_3)
	v_add_f32_e32 v39, v43, v41
	v_add_f32_e32 v10, v35, v1
	s_delay_alu instid0(VALU_DEP_4) | instskip(SKIP_1) | instid1(VALU_DEP_3)
	v_sub_f32_e32 v38, v38, v51
	v_dual_sub_f32 v11, v14, v12 :: v_dual_and_b32 v22, 0xffff, v50
	v_dual_mul_f32 v27, 0x3f167918, v39 :: v_dual_add_f32 v20, v36, v10
	s_delay_alu instid0(VALU_DEP_3) | instskip(SKIP_1) | instid1(VALU_DEP_4)
	v_dual_add_f32 v37, v49, v38 :: v_dual_sub_f32 v10, v8, v16
	v_add_f32_e32 v16, v16, v8
	v_add_lshl_u32 v22, v28, v22, 3
	s_delay_alu instid0(VALU_DEP_3) | instskip(SKIP_2) | instid1(VALU_DEP_3)
	v_dual_add_f32 v14, v29, v52 :: v_dual_mul_f32 v21, 0x3f167918, v37
	v_fma_f32 v18, 0x3f4f1bbd, v37, -v27
	v_dual_add_f32 v12, v30, v42 :: v_dual_add_f32 v9, v31, v55
	v_dual_add_f32 v8, v0, v48 :: v_dual_fmac_f32 v21, 0x3f4f1bbd, v39
	s_delay_alu instid0(VALU_DEP_3) | instskip(NEXT) | instid1(VALU_DEP_2)
	v_sub_f32_e32 v1, v25, v18
	v_dual_add_f32 v19, v25, v18 :: v_dual_sub_f32 v0, v20, v21
	v_add_f32_e32 v18, v20, v21
	ds_store_b128 v22, v[16:19]
	ds_store_b128 v22, v[12:15] offset:16
	ds_store_b128 v22, v[8:11] offset:32
	;; [unrolled: 1-line block ×4, first 2 shown]
.LBB0_7:
	s_wait_alu 0xfffe
	s_or_b32 exec_lo, exec_lo, s0
	v_and_b32_e32 v0, 0xff, v45
	s_load_b128 s[0:3], s[2:3], 0x0
	global_wb scope:SCOPE_SE
	s_wait_dscnt 0x0
	s_wait_kmcnt 0x0
	s_barrier_signal -1
	s_barrier_wait -1
	v_mul_lo_u16 v0, 0xcd, v0
	global_inv scope:SCOPE_SE
	v_add_lshl_u32 v48, v28, v45, 3
	v_lshrrev_b16 v0, 11, v0
	s_delay_alu instid0(VALU_DEP_1) | instskip(NEXT) | instid1(VALU_DEP_1)
	v_mul_lo_u16 v1, v0, 10
	v_sub_nc_u16 v1, v45, v1
	s_delay_alu instid0(VALU_DEP_1) | instskip(NEXT) | instid1(VALU_DEP_1)
	v_and_b32_e32 v33, 0xff, v1
	v_mul_u32_u24_e32 v1, 6, v33
	s_delay_alu instid0(VALU_DEP_1)
	v_lshlrev_b32_e32 v1, 3, v1
	s_clause 0x2
	global_load_b128 v[16:19], v1, s[6:7]
	global_load_b128 v[12:15], v1, s[6:7] offset:16
	global_load_b128 v[8:11], v1, s[6:7] offset:32
	ds_load_2addr_b64 v[20:23], v48 offset1:70
	v_add_nc_u32_e32 v40, 0x800, v48
	ds_load_2addr_b64 v[24:27], v48 offset0:140 offset1:210
	ds_load_2addr_b64 v[29:32], v40 offset0:24 offset1:94
	v_and_b32_e32 v0, 0xffff, v0
	s_wait_loadcnt_dscnt 0x101
	v_dual_mul_f32 v36, v25, v19 :: v_dual_mul_f32 v39, v26, v13
	s_delay_alu instid0(VALU_DEP_2)
	v_mul_u32_u24_e32 v34, 0x46, v0
	ds_load_b64 v[0:1], v48 offset:3360
	v_dual_mul_f32 v37, v24, v19 :: v_dual_mul_f32 v38, v27, v13
	s_wait_dscnt 0x1
	v_dual_mul_f32 v42, v29, v15 :: v_dual_add_nc_u32 v35, v34, v33
	s_wait_loadcnt 0x0
	v_mul_f32_e32 v43, v32, v9
	v_mad_co_u64_u32 v[33:34], null, v45, 48, s[6:7]
	s_delay_alu instid0(VALU_DEP_3)
	v_fmac_f32_e32 v42, v30, v14
	global_wb scope:SCOPE_SE
	s_wait_dscnt 0x0
	s_barrier_signal -1
	s_barrier_wait -1
	global_inv scope:SCOPE_SE
	v_mul_f32_e32 v41, v30, v15
	v_mul_f32_e32 v52, v1, v11
	v_add_lshl_u32 v51, v28, v35, 3
	v_mul_f32_e32 v28, v23, v17
	v_mul_f32_e32 v35, v22, v17
	;; [unrolled: 1-line block ×3, first 2 shown]
	v_fma_f32 v0, v0, v10, -v52
	s_delay_alu instid0(VALU_DEP_4)
	v_fma_f32 v22, v22, v16, -v28
	v_mul_f32_e32 v49, v31, v9
	v_fmac_f32_e32 v37, v25, v18
	v_fma_f32 v25, v29, v14, -v41
	v_fmac_f32_e32 v35, v23, v16
	v_fma_f32 v23, v24, v18, -v36
	v_fma_f32 v24, v26, v12, -v38
	v_fmac_f32_e32 v53, v1, v10
	v_fma_f32 v1, v31, v8, -v43
	v_add_f32_e32 v26, v22, v0
	v_sub_f32_e32 v0, v22, v0
	v_add_f32_e32 v30, v24, v25
	v_sub_f32_e32 v24, v25, v24
	v_add_f32_e32 v28, v23, v1
	v_fmac_f32_e32 v39, v27, v12
	v_dual_fmac_f32 v49, v32, v8 :: v_dual_sub_f32 v22, v35, v53
	v_add_f32_e32 v27, v35, v53
	s_delay_alu instid0(VALU_DEP_4) | instskip(NEXT) | instid1(VALU_DEP_3)
	v_dual_sub_f32 v1, v23, v1 :: v_dual_add_f32 v32, v28, v26
	v_dual_add_f32 v29, v37, v49 :: v_dual_sub_f32 v36, v28, v26
	v_dual_sub_f32 v23, v37, v49 :: v_dual_sub_f32 v28, v30, v28
	v_sub_f32_e32 v25, v42, v39
	v_sub_f32_e32 v26, v26, v30
	v_dual_add_f32 v31, v39, v42 :: v_dual_add_f32 v38, v24, v1
	v_dual_add_f32 v35, v29, v27 :: v_dual_add_f32 v30, v30, v32
	v_sub_f32_e32 v37, v29, v27
	s_delay_alu instid0(VALU_DEP_3)
	v_dual_sub_f32 v27, v27, v31 :: v_dual_mul_f32 v26, 0x3f4a47b2, v26
	v_sub_f32_e32 v41, v24, v1
	v_dual_sub_f32 v24, v0, v24 :: v_dual_sub_f32 v29, v31, v29
	v_sub_f32_e32 v42, v25, v23
	v_add_f32_e32 v39, v25, v23
	v_sub_f32_e32 v43, v1, v0
	v_dual_sub_f32 v23, v23, v22 :: v_dual_add_f32 v32, v38, v0
	v_mul_f32_e32 v38, 0x3d64c772, v29
	v_add_f32_e32 v0, v20, v30
	v_dual_fmamk_f32 v20, v28, 0x3d64c772, v26 :: v_dual_sub_f32 v25, v22, v25
	v_dual_add_f32 v22, v39, v22 :: v_dual_mul_f32 v39, 0xbf08b237, v41
	v_fma_f32 v26, 0xbf3bfb3b, v36, -v26
	v_mul_f32_e32 v41, 0xbf08b237, v42
	v_mul_f32_e32 v42, 0x3f5ff5aa, v43
	v_add_f32_e32 v31, v31, v35
	v_mul_f32_e32 v35, 0x3d64c772, v28
	v_mul_f32_e32 v49, 0x3f5ff5aa, v23
	s_delay_alu instid0(VALU_DEP_2) | instskip(SKIP_1) | instid1(VALU_DEP_1)
	v_fma_f32 v28, 0x3f3bfb3b, v36, -v35
	v_fmamk_f32 v36, v25, 0x3eae86e6, v41
	v_dual_add_f32 v1, v21, v31 :: v_dual_fmac_f32 v36, 0x3ee1c552, v22
	v_mul_f32_e32 v27, 0x3f4a47b2, v27
	s_delay_alu instid0(VALU_DEP_1) | instskip(SKIP_3) | instid1(VALU_DEP_2)
	v_fmamk_f32 v21, v29, 0x3d64c772, v27
	v_fma_f32 v29, 0x3f3bfb3b, v37, -v38
	v_fma_f32 v38, 0x3f5ff5aa, v23, -v41
	v_fmamk_f32 v23, v30, 0xbf955555, v0
	v_fmac_f32_e32 v38, 0x3ee1c552, v22
	s_delay_alu instid0(VALU_DEP_2) | instskip(SKIP_2) | instid1(VALU_DEP_3)
	v_add_f32_e32 v30, v20, v23
	v_add_f32_e32 v28, v28, v23
	v_fmamk_f32 v35, v24, 0x3eae86e6, v39
	v_add_f32_e32 v20, v36, v30
	v_fma_f32 v27, 0xbf3bfb3b, v37, -v27
	v_fma_f32 v37, 0x3f5ff5aa, v43, -v39
	;; [unrolled: 1-line block ×3, first 2 shown]
	v_fmamk_f32 v24, v31, 0xbf955555, v1
	v_fmac_f32_e32 v35, 0x3ee1c552, v32
	v_sub_f32_e32 v30, v30, v36
	s_delay_alu instid0(VALU_DEP_4) | instskip(NEXT) | instid1(VALU_DEP_4)
	v_fmac_f32_e32 v39, 0x3ee1c552, v32
	v_add_f32_e32 v42, v27, v24
	v_fma_f32 v41, 0xbeae86e6, v25, -v49
	v_lshl_add_u32 v49, v45, 3, v47
	v_add_f32_e32 v31, v21, v24
	v_dual_add_f32 v27, v29, v24 :: v_dual_sub_f32 v24, v28, v38
	s_delay_alu instid0(VALU_DEP_4) | instskip(SKIP_1) | instid1(VALU_DEP_4)
	v_fmac_f32_e32 v41, 0x3ee1c552, v22
	v_dual_fmac_f32 v37, 0x3ee1c552, v32 :: v_dual_add_f32 v32, v26, v23
	v_dual_sub_f32 v21, v31, v35 :: v_dual_add_nc_u32 v52, 0x800, v49
	v_sub_f32_e32 v23, v42, v39
	v_add_f32_e32 v26, v38, v28
	s_delay_alu instid0(VALU_DEP_4)
	v_add_f32_e32 v22, v41, v32
	v_dual_sub_f32 v28, v32, v41 :: v_dual_add_f32 v25, v37, v27
	v_sub_f32_e32 v27, v27, v37
	v_add_f32_e32 v29, v39, v42
	v_add_f32_e32 v31, v35, v31
	ds_store_2addr_b64 v51, v[0:1], v[20:21] offset1:10
	ds_store_2addr_b64 v51, v[22:23], v[24:25] offset0:20 offset1:30
	ds_store_2addr_b64 v51, v[26:27], v[28:29] offset0:40 offset1:50
	ds_store_b64 v51, v[30:31] offset:480
	global_wb scope:SCOPE_SE
	s_wait_dscnt 0x0
	s_barrier_signal -1
	s_barrier_wait -1
	global_inv scope:SCOPE_SE
	s_clause 0x2
	global_load_b128 v[28:31], v[33:34], off offset:480
	global_load_b128 v[24:27], v[33:34], off offset:496
	;; [unrolled: 1-line block ×3, first 2 shown]
	ds_load_2addr_b64 v[32:35], v48 offset1:70
	ds_load_2addr_b64 v[36:39], v48 offset0:140 offset1:210
	ds_load_2addr_b64 v[40:43], v40 offset0:24 offset1:94
	ds_load_b64 v[0:1], v48 offset:3360
	s_wait_loadcnt_dscnt 0x101
	v_dual_mul_f32 v53, v35, v29 :: v_dual_mul_f32 v60, v40, v27
	v_mul_f32_e32 v54, v34, v29
	v_mul_f32_e32 v56, v36, v31
	v_dual_mul_f32 v58, v38, v25 :: v_dual_mul_f32 v55, v37, v31
	s_wait_loadcnt 0x0
	v_dual_mul_f32 v61, v43, v21 :: v_dual_fmac_f32 v60, v41, v26
	v_dual_mul_f32 v62, v42, v21 :: v_dual_mul_f32 v59, v41, v27
	s_wait_dscnt 0x0
	v_dual_mul_f32 v64, v0, v23 :: v_dual_mul_f32 v57, v39, v25
	v_fma_f32 v34, v34, v28, -v53
	v_dual_mul_f32 v63, v1, v23 :: v_dual_fmac_f32 v54, v35, v28
	v_fmac_f32_e32 v56, v37, v30
	v_fmac_f32_e32 v58, v39, v24
	v_fma_f32 v35, v36, v30, -v55
	s_delay_alu instid0(VALU_DEP_4)
	v_fma_f32 v0, v0, v22, -v63
	v_fmac_f32_e32 v64, v1, v22
	v_fma_f32 v36, v38, v24, -v57
	v_fma_f32 v1, v42, v20, -v61
	v_fmac_f32_e32 v62, v43, v20
	v_add_f32_e32 v38, v34, v0
	v_fma_f32 v37, v40, v26, -v59
	s_delay_alu instid0(VALU_DEP_4) | instskip(NEXT) | instid1(VALU_DEP_4)
	v_dual_add_f32 v39, v54, v64 :: v_dual_add_f32 v40, v35, v1
	v_dual_sub_f32 v0, v34, v0 :: v_dual_add_f32 v41, v56, v62
	v_dual_sub_f32 v34, v54, v64 :: v_dual_sub_f32 v1, v35, v1
	v_sub_f32_e32 v35, v56, v62
	v_dual_add_f32 v42, v36, v37 :: v_dual_add_f32 v43, v58, v60
	v_dual_sub_f32 v36, v37, v36 :: v_dual_sub_f32 v37, v60, v58
	v_dual_add_f32 v54, v41, v39 :: v_dual_add_f32 v53, v40, v38
	v_dual_sub_f32 v56, v41, v39 :: v_dual_sub_f32 v55, v40, v38
	s_delay_alu instid0(VALU_DEP_4)
	v_sub_f32_e32 v40, v42, v40
	v_dual_sub_f32 v38, v38, v42 :: v_dual_sub_f32 v39, v39, v43
	v_dual_sub_f32 v41, v43, v41 :: v_dual_add_f32 v58, v37, v35
	v_dual_add_f32 v57, v36, v1 :: v_dual_sub_f32 v60, v37, v35
	v_sub_f32_e32 v59, v36, v1
	v_dual_sub_f32 v36, v0, v36 :: v_dual_sub_f32 v37, v34, v37
	v_dual_sub_f32 v1, v1, v0 :: v_dual_add_f32 v42, v42, v53
	v_sub_f32_e32 v35, v35, v34
	v_add_f32_e32 v43, v43, v54
	v_dual_add_f32 v34, v58, v34 :: v_dual_mul_f32 v39, 0x3f4a47b2, v39
	v_mul_f32_e32 v58, 0xbf08b237, v60
	s_delay_alu instid0(VALU_DEP_3)
	v_dual_mul_f32 v38, 0x3f4a47b2, v38 :: v_dual_add_f32 v33, v33, v43
	v_add_f32_e32 v0, v57, v0
	v_dual_mul_f32 v53, 0x3d64c772, v40 :: v_dual_add_f32 v32, v32, v42
	v_mul_f32_e32 v54, 0x3d64c772, v41
	v_mul_f32_e32 v60, 0x3f5ff5aa, v35
	v_dual_fmamk_f32 v40, v40, 0x3d64c772, v38 :: v_dual_fmamk_f32 v41, v41, 0x3d64c772, v39
	v_mul_f32_e32 v57, 0xbf08b237, v59
	v_mul_f32_e32 v59, 0x3f5ff5aa, v1
	v_fma_f32 v53, 0x3f3bfb3b, v55, -v53
	v_fma_f32 v54, 0x3f3bfb3b, v56, -v54
	;; [unrolled: 1-line block ×4, first 2 shown]
	v_dual_fmamk_f32 v55, v36, 0x3eae86e6, v57 :: v_dual_fmamk_f32 v56, v37, 0x3eae86e6, v58
	v_fma_f32 v1, 0x3f5ff5aa, v1, -v57
	v_fma_f32 v57, 0x3f5ff5aa, v35, -v58
	;; [unrolled: 1-line block ×4, first 2 shown]
	v_dual_fmamk_f32 v35, v42, 0xbf955555, v32 :: v_dual_fmamk_f32 v36, v43, 0xbf955555, v33
	v_dual_fmac_f32 v55, 0x3ee1c552, v0 :: v_dual_fmac_f32 v56, 0x3ee1c552, v34
	v_fmac_f32_e32 v1, 0x3ee1c552, v0
	v_dual_fmac_f32 v57, 0x3ee1c552, v34 :: v_dual_fmac_f32 v58, 0x3ee1c552, v0
	s_delay_alu instid0(VALU_DEP_4)
	v_dual_fmac_f32 v59, 0x3ee1c552, v34 :: v_dual_add_f32 v0, v40, v35
	v_add_f32_e32 v40, v53, v35
	v_add_f32_e32 v60, v41, v36
	v_dual_add_f32 v42, v38, v35 :: v_dual_add_f32 v43, v39, v36
	v_add_f32_e32 v41, v54, v36
	v_add_f32_e32 v34, v56, v0
	s_delay_alu instid0(VALU_DEP_3) | instskip(NEXT) | instid1(VALU_DEP_4)
	v_dual_sub_f32 v35, v60, v55 :: v_dual_add_f32 v36, v59, v42
	v_dual_sub_f32 v37, v43, v58 :: v_dual_sub_f32 v38, v40, v57
	v_add_f32_e32 v43, v58, v43
	v_dual_add_f32 v39, v1, v41 :: v_dual_sub_f32 v42, v42, v59
	v_add_f32_e32 v40, v57, v40
	v_dual_sub_f32 v41, v41, v1 :: v_dual_sub_f32 v0, v0, v56
	v_add_f32_e32 v1, v55, v60
	ds_store_2addr_b64 v49, v[32:33], v[34:35] offset1:70
	ds_store_2addr_b64 v49, v[36:37], v[38:39] offset0:140 offset1:210
	ds_store_2addr_b64 v52, v[40:41], v[42:43] offset0:24 offset1:94
	ds_store_b64 v49, v[0:1] offset:3360
	global_wb scope:SCOPE_SE
	s_wait_dscnt 0x0
	s_barrier_signal -1
	s_barrier_wait -1
	global_inv scope:SCOPE_SE
	s_and_saveexec_b32 s6, vcc_lo
	s_cbranch_execz .LBB0_9
; %bb.8:
	s_add_nc_u64 s[10:11], s[8:9], 0xf50
	s_clause 0x9
	global_load_b64 v[73:74], v46, s[8:9] offset:3920
	global_load_b64 v[75:76], v46, s[10:11] offset:392
	;; [unrolled: 1-line block ×10, first 2 shown]
	ds_load_2addr_b64 v[53:56], v49 offset1:49
	ds_load_2addr_b64 v[57:60], v49 offset0:98 offset1:147
	ds_load_2addr_b64 v[61:64], v49 offset0:196 offset1:245
	;; [unrolled: 1-line block ×4, first 2 shown]
	s_wait_loadcnt_dscnt 0x804
	v_dual_mul_f32 v94, v54, v74 :: v_dual_mul_f32 v95, v56, v76
	v_dual_mul_f32 v93, v53, v74 :: v_dual_mul_f32 v74, v55, v76
	s_wait_loadcnt_dscnt 0x603
	v_dual_mul_f32 v96, v58, v78 :: v_dual_mul_f32 v97, v60, v80
	s_wait_loadcnt_dscnt 0x402
	v_dual_mul_f32 v76, v57, v78 :: v_dual_mul_f32 v99, v64, v84
	v_dual_mul_f32 v78, v59, v80 :: v_dual_fmac_f32 v93, v54, v73
	s_wait_loadcnt_dscnt 0x201
	v_dual_mul_f32 v98, v62, v82 :: v_dual_mul_f32 v101, v68, v88
	s_wait_loadcnt_dscnt 0x0
	v_dual_mul_f32 v80, v61, v82 :: v_dual_mul_f32 v103, v72, v92
	v_mul_f32_e32 v82, v63, v84
	v_mul_f32_e32 v100, v66, v86
	;; [unrolled: 1-line block ×7, first 2 shown]
	v_fma_f32 v92, v53, v73, -v94
	v_fma_f32 v73, v55, v75, -v95
	v_fmac_f32_e32 v74, v56, v75
	v_fma_f32 v75, v57, v77, -v96
	v_fmac_f32_e32 v76, v58, v77
	;; [unrolled: 2-line block ×9, first 2 shown]
	ds_store_2addr_b64 v49, v[92:93], v[73:74] offset1:49
	ds_store_2addr_b64 v49, v[75:76], v[77:78] offset0:98 offset1:147
	ds_store_2addr_b64 v49, v[79:80], v[81:82] offset0:196 offset1:245
	;; [unrolled: 1-line block ×4, first 2 shown]
.LBB0_9:
	s_wait_alu 0xfffe
	s_or_b32 exec_lo, exec_lo, s6
	global_wb scope:SCOPE_SE
	s_wait_dscnt 0x0
	s_barrier_signal -1
	s_barrier_wait -1
	global_inv scope:SCOPE_SE
	s_and_saveexec_b32 s6, vcc_lo
	s_cbranch_execz .LBB0_11
; %bb.10:
	v_add_nc_u32_e32 v4, 0x800, v49
	ds_load_2addr_b64 v[32:35], v49 offset1:49
	ds_load_2addr_b64 v[36:39], v49 offset0:98 offset1:147
	ds_load_2addr_b64 v[40:43], v49 offset0:196 offset1:245
	;; [unrolled: 1-line block ×4, first 2 shown]
.LBB0_11:
	s_wait_alu 0xfffe
	s_or_b32 exec_lo, exec_lo, s6
	global_wb scope:SCOPE_SE
	s_wait_dscnt 0x0
	s_barrier_signal -1
	s_barrier_wait -1
	global_inv scope:SCOPE_SE
	s_and_saveexec_b32 s6, vcc_lo
	s_cbranch_execz .LBB0_13
; %bb.12:
	v_dual_add_f32 v52, v1, v41 :: v_dual_add_f32 v55, v43, v3
	v_dual_sub_f32 v53, v37, v41 :: v_dual_add_f32 v56, v42, v2
	v_dual_sub_f32 v58, v38, v42 :: v_dual_sub_f32 v61, v39, v7
	s_delay_alu instid0(VALU_DEP_3) | instskip(SKIP_1) | instid1(VALU_DEP_4)
	v_fma_f32 v60, -0.5, v55, v35
	v_dual_sub_f32 v59, v38, v6 :: v_dual_sub_f32 v62, v7, v3
	v_fma_f32 v56, -0.5, v56, v34
	v_dual_sub_f32 v55, v39, v43 :: v_dual_sub_f32 v64, v42, v2
	v_dual_sub_f32 v65, v6, v2 :: v_dual_sub_f32 v54, v5, v1
	s_delay_alu instid0(VALU_DEP_3) | instskip(NEXT) | instid1(VALU_DEP_2)
	v_dual_sub_f32 v57, v36, v4 :: v_dual_fmamk_f32 v66, v61, 0x3f737871, v56
	v_dual_fmamk_f32 v63, v59, 0xbf737871, v60 :: v_dual_add_f32 v58, v58, v65
	v_fma_f32 v52, -0.5, v52, v33
	v_sub_f32_e32 v67, v43, v3
	s_delay_alu instid0(VALU_DEP_3) | instskip(SKIP_1) | instid1(VALU_DEP_4)
	v_dual_add_f32 v62, v55, v62 :: v_dual_fmac_f32 v63, 0xbf167918, v64
	v_add_f32_e32 v54, v54, v53
	v_dual_fmamk_f32 v68, v57, 0xbf737871, v52 :: v_dual_sub_f32 v69, v40, v0
	s_delay_alu instid0(VALU_DEP_4) | instskip(NEXT) | instid1(VALU_DEP_4)
	v_fmac_f32_e32 v66, 0x3f167918, v67
	v_dual_fmac_f32 v63, 0x3e9e377a, v62 :: v_dual_add_f32 v70, v5, v37
	s_delay_alu instid0(VALU_DEP_3) | instskip(NEXT) | instid1(VALU_DEP_3)
	v_dual_add_f32 v71, v39, v7 :: v_dual_fmac_f32 v68, 0xbf167918, v69
	v_dual_fmac_f32 v66, 0x3e9e377a, v58 :: v_dual_sub_f32 v53, v41, v37
	s_delay_alu instid0(VALU_DEP_3) | instskip(NEXT) | instid1(VALU_DEP_4)
	v_mul_f32_e32 v65, 0xbf4f1bbd, v63
	v_fma_f32 v70, -0.5, v70, v33
	s_delay_alu instid0(VALU_DEP_4) | instskip(SKIP_1) | instid1(VALU_DEP_4)
	v_dual_fmac_f32 v68, 0x3e9e377a, v54 :: v_dual_sub_f32 v73, v1, v5
	v_fma_f32 v71, -0.5, v71, v35
	v_dual_fmac_f32 v65, 0x3f167918, v66 :: v_dual_sub_f32 v76, v3, v7
	v_add_f32_e32 v72, v38, v6
	v_dual_sub_f32 v74, v42, v38 :: v_dual_sub_f32 v75, v43, v39
	s_delay_alu instid0(VALU_DEP_3) | instskip(SKIP_1) | instid1(VALU_DEP_3)
	v_sub_f32_e32 v55, v68, v65
	v_dual_fmamk_f32 v77, v64, 0x3f737871, v71 :: v_dual_sub_f32 v78, v2, v6
	v_dual_fmamk_f32 v80, v69, 0x3f737871, v70 :: v_dual_add_f32 v75, v75, v76
	v_fma_f32 v72, -0.5, v72, v34
	s_delay_alu instid0(VALU_DEP_3)
	v_fmac_f32_e32 v77, 0xbf167918, v59
	v_add_f32_e32 v53, v73, v53
	v_dual_fmac_f32 v71, 0xbf737871, v64 :: v_dual_fmac_f32 v70, 0xbf737871, v69
	v_fmac_f32_e32 v80, 0xbf167918, v57
	v_dual_fmamk_f32 v79, v67, 0xbf737871, v72 :: v_dual_add_f32 v74, v74, v78
	v_fmac_f32_e32 v72, 0x3f737871, v67
	s_delay_alu instid0(VALU_DEP_3) | instskip(SKIP_4) | instid1(VALU_DEP_4)
	v_dual_fmac_f32 v77, 0x3e9e377a, v75 :: v_dual_fmac_f32 v80, 0x3e9e377a, v53
	v_dual_fmac_f32 v71, 0x3f167918, v59 :: v_dual_fmac_f32 v70, 0x3f167918, v57
	v_fmac_f32_e32 v60, 0x3f737871, v59
	v_fmac_f32_e32 v79, 0x3f167918, v61
	v_dual_fmac_f32 v56, 0xbf737871, v61 :: v_dual_add_f32 v35, v39, v35
	v_fmac_f32_e32 v70, 0x3e9e377a, v53
	s_delay_alu instid0(VALU_DEP_4) | instskip(SKIP_1) | instid1(VALU_DEP_4)
	v_fmac_f32_e32 v60, 0x3f167918, v64
	v_dual_fmac_f32 v52, 0x3f737871, v57 :: v_dual_add_f32 v57, v0, v40
	v_add_f32_e32 v35, v43, v35
	v_dual_fmac_f32 v56, 0xbf167918, v67 :: v_dual_add_f32 v33, v37, v33
	s_delay_alu instid0(VALU_DEP_4) | instskip(NEXT) | instid1(VALU_DEP_4)
	v_dual_fmac_f32 v60, 0x3e9e377a, v62 :: v_dual_sub_f32 v37, v37, v5
	v_fma_f32 v39, -0.5, v57, v32
	s_delay_alu instid0(VALU_DEP_4) | instskip(NEXT) | instid1(VALU_DEP_4)
	v_dual_add_f32 v3, v3, v35 :: v_dual_fmac_f32 v72, 0xbf167918, v61
	v_dual_fmac_f32 v56, 0x3e9e377a, v58 :: v_dual_add_f32 v33, v41, v33
	s_delay_alu instid0(VALU_DEP_3) | instskip(NEXT) | instid1(VALU_DEP_3)
	v_fmamk_f32 v62, v37, 0x3f737871, v39
	v_dual_mul_f32 v61, 0x3f4f1bbd, v60 :: v_dual_add_f32 v64, v7, v3
	v_fmac_f32_e32 v52, 0x3f167918, v69
	v_mul_f32_e32 v73, 0xbe9e377a, v77
	v_sub_f32_e32 v43, v36, v40
	s_delay_alu instid0(VALU_DEP_4) | instskip(SKIP_4) | instid1(VALU_DEP_4)
	v_fmac_f32_e32 v61, 0x3f167918, v56
	v_mul_f32_e32 v63, 0xbf167918, v63
	v_fmac_f32_e32 v52, 0x3e9e377a, v54
	v_dual_sub_f32 v54, v4, v0 :: v_dual_fmac_f32 v39, 0xbf737871, v37
	v_dual_fmac_f32 v71, 0x3e9e377a, v75 :: v_dual_fmac_f32 v72, 0x3e9e377a, v74
	v_fmac_f32_e32 v63, 0xbf4f1bbd, v66
	s_delay_alu instid0(VALU_DEP_3) | instskip(SKIP_1) | instid1(VALU_DEP_4)
	v_add_f32_e32 v35, v54, v43
	v_sub_f32_e32 v41, v41, v1
	v_dual_fmac_f32 v79, 0x3e9e377a, v74 :: v_dual_mul_f32 v74, 0x3e9e377a, v71
	s_delay_alu instid0(VALU_DEP_2) | instskip(NEXT) | instid1(VALU_DEP_2)
	v_fmac_f32_e32 v62, 0x3f167918, v41
	v_dual_fmac_f32 v73, 0x3f737871, v79 :: v_dual_fmac_f32 v74, 0x3f737871, v72
	s_delay_alu instid0(VALU_DEP_2) | instskip(SKIP_2) | instid1(VALU_DEP_4)
	v_dual_fmac_f32 v62, 0x3e9e377a, v35 :: v_dual_add_f32 v1, v1, v33
	v_fmac_f32_e32 v39, 0xbf167918, v41
	v_add_f32_e32 v33, v4, v36
	v_sub_f32_e32 v59, v70, v74
	s_delay_alu instid0(VALU_DEP_4)
	v_dual_sub_f32 v54, v62, v63 :: v_dual_add_f32 v43, v5, v1
	v_sub_f32_e32 v1, v40, v36
	v_sub_f32_e32 v5, v0, v4
	v_fmac_f32_e32 v39, 0x3e9e377a, v35
	v_dual_add_f32 v7, v38, v34 :: v_dual_mul_f32 v38, 0xbf737871, v71
	v_sub_f32_e32 v57, v52, v61
	v_sub_f32_e32 v3, v43, v64
	v_add_f32_e32 v35, v52, v61
	s_delay_alu instid0(VALU_DEP_4) | instskip(SKIP_4) | instid1(VALU_DEP_3)
	v_dual_sub_f32 v53, v80, v73 :: v_dual_fmac_f32 v38, 0x3e9e377a, v72
	v_add_f32_e32 v1, v5, v1
	v_dual_add_f32 v5, v36, v32 :: v_dual_mul_f32 v36, 0xbf737871, v77
	v_fma_f32 v67, -0.5, v33, v32
	v_add_f32_e32 v33, v64, v43
	v_dual_fmac_f32 v36, 0xbe9e377a, v79 :: v_dual_add_f32 v5, v40, v5
	v_and_b32_e32 v40, 0xffff, v50
	s_delay_alu instid0(VALU_DEP_2) | instskip(SKIP_1) | instid1(VALU_DEP_3)
	v_dual_add_f32 v0, v0, v5 :: v_dual_fmamk_f32 v69, v41, 0xbf737871, v67
	v_fmac_f32_e32 v67, 0x3f737871, v41
	v_lshl_add_u32 v40, v40, 3, v47
	s_delay_alu instid0(VALU_DEP_3) | instskip(NEXT) | instid1(VALU_DEP_4)
	v_dual_add_f32 v5, v70, v74 :: v_dual_add_f32 v0, v4, v0
	v_fmac_f32_e32 v69, 0x3f167918, v37
	s_delay_alu instid0(VALU_DEP_4) | instskip(SKIP_1) | instid1(VALU_DEP_2)
	v_fmac_f32_e32 v67, 0xbf167918, v37
	v_mul_f32_e32 v37, 0xbf167918, v60
	v_fmac_f32_e32 v67, 0x3e9e377a, v1
	s_delay_alu instid0(VALU_DEP_1) | instskip(NEXT) | instid1(VALU_DEP_1)
	v_dual_fmac_f32 v37, 0x3f4f1bbd, v56 :: v_dual_sub_f32 v58, v67, v38
	v_dual_sub_f32 v56, v39, v37 :: v_dual_add_f32 v7, v42, v7
	v_fmac_f32_e32 v69, 0x3e9e377a, v1
	s_delay_alu instid0(VALU_DEP_2) | instskip(SKIP_1) | instid1(VALU_DEP_2)
	v_dual_add_f32 v34, v39, v37 :: v_dual_add_f32 v1, v2, v7
	v_add_f32_e32 v7, v80, v73
	v_add_f32_e32 v4, v6, v1
	;; [unrolled: 1-line block ×3, first 2 shown]
	s_delay_alu instid0(VALU_DEP_2)
	v_add_f32_e32 v32, v4, v0
	v_sub_f32_e32 v2, v0, v4
	v_add_f32_e32 v4, v67, v38
	v_add_f32_e32 v6, v69, v36
	;; [unrolled: 1-line block ×3, first 2 shown]
	v_sub_f32_e32 v52, v69, v36
	ds_store_b128 v40, v[32:35]
	ds_store_b128 v40, v[4:7] offset:16
	ds_store_b128 v40, v[0:3] offset:32
	;; [unrolled: 1-line block ×4, first 2 shown]
.LBB0_13:
	s_wait_alu 0xfffe
	s_or_b32 exec_lo, exec_lo, s6
	global_wb scope:SCOPE_SE
	s_wait_dscnt 0x0
	s_barrier_signal -1
	s_barrier_wait -1
	global_inv scope:SCOPE_SE
	ds_load_2addr_b64 v[0:3], v48 offset1:70
	ds_load_2addr_b64 v[4:7], v48 offset0:140 offset1:210
	ds_load_b64 v[36:37], v48 offset:3360
	s_wait_dscnt 0x2
	v_dual_mul_f32 v39, v17, v3 :: v_dual_add_nc_u32 v38, 0x800, v48
	ds_load_2addr_b64 v[32:35], v38 offset0:24 offset1:94
	s_wait_dscnt 0x2
	v_dual_mul_f32 v17, v17, v2 :: v_dual_mul_f32 v40, v19, v5
	s_wait_dscnt 0x1
	v_dual_mul_f32 v41, v13, v7 :: v_dual_mul_f32 v42, v11, v37
	v_mul_f32_e32 v13, v13, v6
	s_delay_alu instid0(VALU_DEP_3)
	v_dual_fmac_f32 v39, v16, v2 :: v_dual_fmac_f32 v40, v18, v4
	v_mul_f32_e32 v11, v11, v36
	v_fma_f32 v2, v16, v3, -v17
	v_dual_fmac_f32 v41, v12, v6 :: v_dual_fmac_f32 v42, v10, v36
	global_wb scope:SCOPE_SE
	s_wait_dscnt 0x0
	v_fma_f32 v10, v10, v37, -v11
	v_mul_f32_e32 v19, v19, v4
	v_fma_f32 v4, v12, v7, -v13
	s_barrier_signal -1
	s_barrier_wait -1
	v_add_f32_e32 v11, v2, v10
	v_sub_f32_e32 v2, v2, v10
	v_dual_mul_f32 v6, v15, v32 :: v_dual_mul_f32 v7, v9, v35
	v_sub_f32_e32 v12, v39, v42
	v_fma_f32 v3, v18, v5, -v19
	global_inv scope:SCOPE_SE
	v_fma_f32 v6, v14, v33, -v6
	v_mul_f32_e32 v5, v15, v33
	v_mul_f32_e32 v9, v9, v34
	v_fmac_f32_e32 v7, v8, v34
	s_delay_alu instid0(VALU_DEP_1) | instskip(SKIP_3) | instid1(VALU_DEP_1)
	v_dual_add_f32 v10, v40, v7 :: v_dual_fmac_f32 v5, v14, v32
	v_add_f32_e32 v14, v4, v6
	v_sub_f32_e32 v4, v6, v4
	v_fma_f32 v8, v8, v35, -v9
	v_add_f32_e32 v13, v3, v8
	v_dual_sub_f32 v3, v3, v8 :: v_dual_add_f32 v8, v41, v5
	v_sub_f32_e32 v7, v40, v7
	v_add_f32_e32 v9, v39, v42
	s_delay_alu instid0(VALU_DEP_1) | instskip(SKIP_2) | instid1(VALU_DEP_3)
	v_add_f32_e32 v6, v10, v9
	v_sub_f32_e32 v16, v10, v9
	v_dual_sub_f32 v10, v8, v10 :: v_dual_sub_f32 v5, v5, v41
	v_add_f32_e32 v6, v8, v6
	v_add_f32_e32 v19, v4, v3
	v_dual_sub_f32 v33, v4, v3 :: v_dual_sub_f32 v4, v2, v4
	s_delay_alu instid0(VALU_DEP_4)
	v_add_f32_e32 v18, v5, v7
	v_sub_f32_e32 v32, v5, v7
	v_add_f32_e32 v15, v13, v11
	v_sub_f32_e32 v17, v13, v11
	v_sub_f32_e32 v11, v11, v14
	v_dual_sub_f32 v13, v14, v13 :: v_dual_add_f32 v0, v0, v6
	v_sub_f32_e32 v7, v7, v12
	v_dual_sub_f32 v5, v12, v5 :: v_dual_add_f32 v12, v18, v12
	v_dual_sub_f32 v9, v9, v8 :: v_dual_add_f32 v8, v14, v15
	v_mul_f32_e32 v14, 0x3d64c772, v10
	v_fmamk_f32 v6, v6, 0xbf955555, v0
	v_mul_f32_e32 v18, 0x3f08b237, v32
	s_delay_alu instid0(VALU_DEP_3) | instskip(SKIP_3) | instid1(VALU_DEP_3)
	v_fma_f32 v14, 0x3f3bfb3b, v16, -v14
	v_mul_f32_e32 v9, 0x3f4a47b2, v9
	v_sub_f32_e32 v3, v3, v2
	v_add_f32_e32 v2, v19, v2
	v_dual_fmamk_f32 v10, v10, 0x3d64c772, v9 :: v_dual_add_f32 v1, v1, v8
	s_delay_alu instid0(VALU_DEP_1) | instskip(NEXT) | instid1(VALU_DEP_2)
	v_dual_add_f32 v34, v10, v6 :: v_dual_mul_f32 v15, 0x3d64c772, v13
	v_fmamk_f32 v8, v8, 0xbf955555, v1
	v_add_f32_e32 v10, v14, v6
	v_fma_f32 v9, 0xbf3bfb3b, v16, -v9
	v_mul_f32_e32 v32, 0xbf5ff5aa, v7
	v_fma_f32 v15, 0x3f3bfb3b, v17, -v15
	v_mul_f32_e32 v11, 0x3f4a47b2, v11
	s_delay_alu instid0(VALU_DEP_3) | instskip(NEXT) | instid1(VALU_DEP_3)
	v_fma_f32 v32, 0x3eae86e6, v5, -v32
	v_dual_add_f32 v14, v15, v8 :: v_dual_add_f32 v15, v9, v6
	v_mul_f32_e32 v19, 0x3f08b237, v33
	v_mul_f32_e32 v33, 0xbf5ff5aa, v3
	v_fmamk_f32 v16, v5, 0xbeae86e6, v18
	v_fmamk_f32 v13, v13, 0x3d64c772, v11
	v_fma_f32 v11, 0xbf3bfb3b, v17, -v11
	v_fmamk_f32 v17, v4, 0xbeae86e6, v19
	v_fma_f32 v33, 0x3eae86e6, v4, -v33
	v_fmac_f32_e32 v16, 0xbee1c552, v12
	v_fmac_f32_e32 v32, 0xbee1c552, v12
	v_fma_f32 v18, 0xbf5ff5aa, v7, -v18
	v_fmac_f32_e32 v17, 0xbee1c552, v2
	s_delay_alu instid0(VALU_DEP_2) | instskip(NEXT) | instid1(VALU_DEP_2)
	v_dual_fmac_f32 v33, 0xbee1c552, v2 :: v_dual_fmac_f32 v18, 0xbee1c552, v12
	v_dual_add_f32 v11, v11, v8 :: v_dual_sub_f32 v12, v34, v17
	s_delay_alu instid0(VALU_DEP_2) | instskip(SKIP_1) | instid1(VALU_DEP_4)
	v_add_f32_e32 v4, v33, v15
	v_fma_f32 v19, 0xbf5ff5aa, v3, -v19
	v_add_f32_e32 v7, v18, v14
	s_delay_alu instid0(VALU_DEP_4) | instskip(SKIP_4) | instid1(VALU_DEP_2)
	v_sub_f32_e32 v5, v11, v32
	v_sub_f32_e32 v9, v14, v18
	v_add_f32_e32 v11, v32, v11
	v_fmac_f32_e32 v19, 0xbee1c552, v2
	v_add_f32_e32 v2, v17, v34
	v_dual_sub_f32 v6, v10, v19 :: v_dual_add_f32 v13, v13, v8
	v_add_f32_e32 v8, v19, v10
	s_delay_alu instid0(VALU_DEP_2)
	v_dual_sub_f32 v10, v15, v33 :: v_dual_sub_f32 v3, v13, v16
	v_add_f32_e32 v13, v16, v13
	ds_store_2addr_b64 v51, v[0:1], v[2:3] offset1:10
	ds_store_2addr_b64 v51, v[4:5], v[6:7] offset0:20 offset1:30
	ds_store_2addr_b64 v51, v[8:9], v[10:11] offset0:40 offset1:50
	ds_store_b64 v51, v[12:13] offset:480
	global_wb scope:SCOPE_SE
	s_wait_dscnt 0x0
	s_barrier_signal -1
	s_barrier_wait -1
	global_inv scope:SCOPE_SE
	ds_load_2addr_b64 v[0:3], v48 offset1:70
	ds_load_2addr_b64 v[4:7], v48 offset0:140 offset1:210
	ds_load_2addr_b64 v[8:11], v38 offset0:24 offset1:94
	ds_load_b64 v[12:13], v48 offset:3360
	s_wait_dscnt 0x3
	v_mul_f32_e32 v14, v29, v3
	s_wait_dscnt 0x2
	v_mul_f32_e32 v16, v25, v7
	s_wait_dscnt 0x1
	v_dual_mul_f32 v17, v25, v6 :: v_dual_mul_f32 v18, v27, v9
	v_fmac_f32_e32 v14, v28, v2
	s_delay_alu instid0(VALU_DEP_3) | instskip(SKIP_4) | instid1(VALU_DEP_3)
	v_fmac_f32_e32 v16, v24, v6
	s_wait_dscnt 0x0
	v_dual_mul_f32 v6, v23, v13 :: v_dual_mul_f32 v15, v29, v2
	v_fmac_f32_e32 v18, v26, v8
	v_mul_f32_e32 v8, v27, v8
	v_fmac_f32_e32 v6, v22, v12
	s_delay_alu instid0(VALU_DEP_4) | instskip(SKIP_3) | instid1(VALU_DEP_3)
	v_fma_f32 v2, v28, v3, -v15
	v_mul_f32_e32 v3, v31, v5
	v_mul_f32_e32 v15, v31, v4
	v_fma_f32 v8, v26, v9, -v8
	v_fmac_f32_e32 v3, v30, v4
	s_delay_alu instid0(VALU_DEP_3) | instskip(SKIP_3) | instid1(VALU_DEP_2)
	v_fma_f32 v4, v30, v5, -v15
	v_fma_f32 v5, v24, v7, -v17
	v_mul_f32_e32 v7, v23, v12
	v_mul_f32_e32 v17, v21, v10
	v_fma_f32 v7, v22, v13, -v7
	s_delay_alu instid0(VALU_DEP_2) | instskip(NEXT) | instid1(VALU_DEP_1)
	v_fma_f32 v9, v20, v11, -v17
	v_dual_mul_f32 v15, v21, v11 :: v_dual_add_f32 v12, v4, v9
	v_sub_f32_e32 v4, v4, v9
	v_add_f32_e32 v9, v16, v18
	s_delay_alu instid0(VALU_DEP_3) | instskip(SKIP_3) | instid1(VALU_DEP_4)
	v_fmac_f32_e32 v15, v20, v10
	v_add_f32_e32 v10, v14, v6
	v_add_f32_e32 v11, v2, v7
	v_dual_sub_f32 v2, v2, v7 :: v_dual_add_f32 v13, v5, v8
	v_dual_add_f32 v7, v3, v15 :: v_dual_sub_f32 v6, v14, v6
	v_dual_sub_f32 v14, v18, v16 :: v_dual_sub_f32 v5, v8, v5
	s_delay_alu instid0(VALU_DEP_2) | instskip(SKIP_2) | instid1(VALU_DEP_1)
	v_add_f32_e32 v8, v7, v10
	v_sub_f32_e32 v16, v7, v10
	v_dual_sub_f32 v10, v10, v9 :: v_dual_sub_f32 v3, v3, v15
	v_add_f32_e32 v18, v14, v3
	s_delay_alu instid0(VALU_DEP_4)
	v_dual_sub_f32 v17, v12, v11 :: v_dual_add_f32 v8, v9, v8
	v_dual_sub_f32 v20, v14, v3 :: v_dual_add_f32 v19, v5, v4
	v_dual_sub_f32 v14, v6, v14 :: v_dual_add_f32 v15, v12, v11
	v_sub_f32_e32 v22, v3, v6
	v_sub_f32_e32 v12, v13, v12
	v_dual_sub_f32 v7, v9, v7 :: v_dual_add_f32 v6, v18, v6
	v_sub_f32_e32 v11, v11, v13
	v_sub_f32_e32 v21, v5, v4
	;; [unrolled: 1-line block ×3, first 2 shown]
	v_dual_add_f32 v9, v13, v15 :: v_dual_sub_f32 v4, v4, v2
	v_dual_add_f32 v13, v19, v2 :: v_dual_add_f32 v2, v0, v8
	v_mul_f32_e32 v0, 0x3f4a47b2, v10
	v_mul_f32_e32 v10, 0x3d64c772, v7
	v_mul_f32_e32 v18, 0x3f08b237, v21
	s_delay_alu instid0(VALU_DEP_4) | instskip(NEXT) | instid1(VALU_DEP_4)
	v_dual_add_f32 v3, v1, v9 :: v_dual_fmamk_f32 v8, v8, 0xbf955555, v2
	v_fmamk_f32 v7, v7, 0x3d64c772, v0
	s_delay_alu instid0(VALU_DEP_4) | instskip(SKIP_3) | instid1(VALU_DEP_4)
	v_fma_f32 v10, 0x3f3bfb3b, v16, -v10
	v_mul_f32_e32 v19, 0xbf5ff5aa, v22
	v_mul_f32_e32 v1, 0x3f4a47b2, v11
	v_fma_f32 v0, 0xbf3bfb3b, v16, -v0
	v_dual_fmamk_f32 v9, v9, 0xbf955555, v3 :: v_dual_add_f32 v10, v10, v8
	v_mul_f32_e32 v15, 0x3f08b237, v20
	v_mul_f32_e32 v20, 0xbf5ff5aa, v4
	s_delay_alu instid0(VALU_DEP_4) | instskip(NEXT) | instid1(VALU_DEP_3)
	v_add_f32_e32 v0, v0, v8
	v_fmamk_f32 v16, v14, 0xbeae86e6, v15
	v_fma_f32 v14, 0x3eae86e6, v14, -v19
	s_delay_alu instid0(VALU_DEP_4) | instskip(SKIP_3) | instid1(VALU_DEP_4)
	v_fma_f32 v19, 0x3eae86e6, v5, -v20
	v_add_f32_e32 v20, v7, v8
	v_dual_mul_f32 v11, 0x3d64c772, v12 :: v_dual_fmamk_f32 v12, v12, 0x3d64c772, v1
	v_fma_f32 v1, 0xbf3bfb3b, v17, -v1
	v_dual_fmac_f32 v19, 0xbee1c552, v13 :: v_dual_fmac_f32 v14, 0xbee1c552, v6
	s_delay_alu instid0(VALU_DEP_3) | instskip(SKIP_3) | instid1(VALU_DEP_4)
	v_fma_f32 v11, 0x3f3bfb3b, v17, -v11
	v_fmamk_f32 v17, v5, 0xbeae86e6, v18
	v_fma_f32 v18, 0xbf5ff5aa, v4, -v18
	v_dual_add_f32 v21, v12, v9 :: v_dual_fmac_f32 v16, 0xbee1c552, v6
	v_add_f32_e32 v11, v11, v9
	v_add_f32_e32 v1, v1, v9
	s_delay_alu instid0(VALU_DEP_4) | instskip(NEXT) | instid1(VALU_DEP_4)
	v_fmac_f32_e32 v18, 0xbee1c552, v13
	v_dual_sub_f32 v12, v0, v19 :: v_dual_sub_f32 v5, v21, v16
	s_delay_alu instid0(VALU_DEP_2) | instskip(SKIP_2) | instid1(VALU_DEP_1)
	v_dual_fmac_f32 v17, 0xbee1c552, v13 :: v_dual_sub_f32 v8, v10, v18
	v_add_f32_e32 v10, v18, v10
	v_fma_f32 v15, 0xbf5ff5aa, v22, -v15
	v_dual_add_f32 v4, v17, v20 :: v_dual_fmac_f32 v15, 0xbee1c552, v6
	v_add_f32_e32 v6, v19, v0
	v_dual_sub_f32 v7, v1, v14 :: v_dual_add_nc_u32 v0, 0x800, v49
	v_add_f32_e32 v13, v14, v1
	s_delay_alu instid0(VALU_DEP_4)
	v_dual_sub_f32 v14, v20, v17 :: v_dual_add_f32 v9, v15, v11
	v_sub_f32_e32 v11, v11, v15
	v_add_f32_e32 v15, v16, v21
	ds_store_2addr_b64 v49, v[2:3], v[4:5] offset1:70
	ds_store_2addr_b64 v49, v[6:7], v[8:9] offset0:140 offset1:210
	ds_store_2addr_b64 v0, v[10:11], v[12:13] offset0:24 offset1:94
	ds_store_b64 v49, v[14:15] offset:3360
	global_wb scope:SCOPE_SE
	s_wait_dscnt 0x0
	s_barrier_signal -1
	s_barrier_wait -1
	global_inv scope:SCOPE_SE
	s_and_b32 exec_lo, exec_lo, vcc_lo
	s_cbranch_execz .LBB0_15
; %bb.14:
	s_clause 0x9
	global_load_b64 v[17:18], v46, s[8:9]
	global_load_b64 v[19:20], v46, s[8:9] offset:392
	global_load_b64 v[21:22], v46, s[8:9] offset:784
	;; [unrolled: 1-line block ×9, first 2 shown]
	ds_load_b64 v[37:38], v49
	ds_load_2addr_b64 v[1:4], v49 offset0:49 offset1:98
	v_mad_co_u64_u32 v[39:40], null, s2, v44, 0
	v_add_nc_u32_e32 v9, 0x400, v49
	ds_load_2addr_b64 v[5:8], v49 offset0:147 offset1:196
	ds_load_2addr_b64 v[9:12], v9 offset0:117 offset1:166
	;; [unrolled: 1-line block ×3, first 2 shown]
	v_mov_b32_e32 v0, v40
	ds_load_b64 v[46:47], v49 offset:3528
	v_mad_co_u64_u32 v[41:42], null, s0, v45, 0
	s_delay_alu instid0(VALU_DEP_1)
	v_mov_b32_e32 v40, v42
	s_wait_dscnt 0x4
	v_mad_co_u64_u32 v[42:43], null, s3, v44, v[0:1]
	s_mov_b32 s2, 0xec259dc8
	s_mov_b32 s3, 0x3f60b7e6
	s_wait_loadcnt 0x7
	v_dual_mul_f32 v43, v2, v20 :: v_dual_mul_f32 v44, v4, v22
	v_mul_f32_e32 v0, v38, v18
	s_wait_loadcnt_dscnt 0x503
	v_mul_f32_e32 v49, v8, v26
	v_mul_f32_e32 v18, v37, v18
	s_wait_loadcnt_dscnt 0x302
	v_dual_mul_f32 v20, v1, v20 :: v_dual_mul_f32 v51, v12, v30
	v_mul_f32_e32 v22, v3, v22
	s_wait_loadcnt_dscnt 0x101
	v_dual_mul_f32 v48, v6, v24 :: v_dual_mul_f32 v53, v16, v34
	s_delay_alu instid0(VALU_DEP_3) | instskip(SKIP_1) | instid1(VALU_DEP_3)
	v_dual_mul_f32 v24, v5, v24 :: v_dual_fmac_f32 v51, v11, v29
	v_mul_f32_e32 v26, v7, v26
	v_dual_mul_f32 v50, v10, v28 :: v_dual_fmac_f32 v53, v15, v33
	v_mul_f32_e32 v28, v9, v28
	v_fmac_f32_e32 v43, v1, v19
	v_fmac_f32_e32 v0, v37, v17
	;; [unrolled: 1-line block ×3, first 2 shown]
	v_fma_f32 v17, v17, v38, -v18
	v_mul_f32_e32 v30, v11, v30
	v_fma_f32 v18, v19, v2, -v20
	v_mul_f32_e32 v52, v14, v32
	v_mul_f32_e32 v32, v13, v32
	v_fmac_f32_e32 v44, v3, v21
	v_fma_f32 v19, v21, v4, -v22
	v_mul_f32_e32 v34, v15, v34
	v_fmac_f32_e32 v48, v5, v23
	v_fma_f32 v20, v23, v6, -v24
	s_wait_loadcnt_dscnt 0x0
	v_mul_f32_e32 v54, v47, v36
	v_mul_f32_e32 v36, v46, v36
	v_fma_f32 v21, v25, v8, -v26
	v_fmac_f32_e32 v50, v9, v27
	v_fma_f32 v22, v27, v10, -v28
	v_cvt_f64_f32_e32 v[0:1], v0
	v_cvt_f64_f32_e32 v[2:3], v17
	v_fma_f32 v26, v29, v12, -v30
	v_cvt_f64_f32_e32 v[4:5], v43
	v_cvt_f64_f32_e32 v[6:7], v18
	v_fmac_f32_e32 v52, v13, v31
	v_fma_f32 v30, v31, v14, -v32
	v_cvt_f64_f32_e32 v[8:9], v44
	v_cvt_f64_f32_e32 v[10:11], v19
	v_fma_f32 v34, v33, v16, -v34
	v_cvt_f64_f32_e32 v[12:13], v48
	v_cvt_f64_f32_e32 v[14:15], v20
	v_fmac_f32_e32 v54, v46, v35
	v_fma_f32 v38, v35, v47, -v36
	v_cvt_f64_f32_e32 v[16:17], v49
	v_cvt_f64_f32_e32 v[18:19], v21
	;; [unrolled: 1-line block ×12, first 2 shown]
	v_mad_co_u64_u32 v[45:46], null, s1, v45, v[40:41]
	v_mov_b32_e32 v40, v42
	s_mul_u64 s[0:1], s[0:1], 0x188
	s_delay_alu instid0(VALU_DEP_1) | instskip(NEXT) | instid1(VALU_DEP_3)
	v_lshlrev_b64_e32 v[38:39], 3, v[39:40]
	v_mov_b32_e32 v42, v45
	s_wait_alu 0xfffe
	v_mul_f64_e32 v[0:1], s[2:3], v[0:1]
	v_mul_f64_e32 v[2:3], s[2:3], v[2:3]
	s_delay_alu instid0(VALU_DEP_3)
	v_lshlrev_b64_e32 v[40:41], 3, v[41:42]
	v_mul_f64_e32 v[4:5], s[2:3], v[4:5]
	v_mul_f64_e32 v[6:7], s[2:3], v[6:7]
	v_add_co_u32 v42, vcc_lo, s4, v38
	v_mul_f64_e32 v[8:9], s[2:3], v[8:9]
	v_mul_f64_e32 v[10:11], s[2:3], v[10:11]
	v_add_co_ci_u32_e32 v45, vcc_lo, s5, v39, vcc_lo
	v_mul_f64_e32 v[12:13], s[2:3], v[12:13]
	v_mul_f64_e32 v[14:15], s[2:3], v[14:15]
	v_add_co_u32 v40, vcc_lo, v42, v40
	v_mul_f64_e32 v[16:17], s[2:3], v[16:17]
	v_mul_f64_e32 v[18:19], s[2:3], v[18:19]
	;; [unrolled: 1-line block ×12, first 2 shown]
	s_wait_alu 0xfffd
	v_add_co_ci_u32_e32 v41, vcc_lo, v45, v41, vcc_lo
	v_add_co_u32 v42, vcc_lo, v40, s0
	s_wait_alu 0xfffd
	s_delay_alu instid0(VALU_DEP_2) | instskip(NEXT) | instid1(VALU_DEP_2)
	v_add_co_ci_u32_e32 v43, vcc_lo, s1, v41, vcc_lo
	v_add_co_u32 v44, vcc_lo, v42, s0
	s_wait_alu 0xfffd
	s_delay_alu instid0(VALU_DEP_2)
	v_add_co_ci_u32_e32 v45, vcc_lo, s1, v43, vcc_lo
	v_cvt_f32_f64_e32 v0, v[0:1]
	v_cvt_f32_f64_e32 v1, v[2:3]
	;; [unrolled: 1-line block ×4, first 2 shown]
	v_add_co_u32 v46, vcc_lo, v44, s0
	v_cvt_f32_f64_e32 v4, v[8:9]
	v_cvt_f32_f64_e32 v5, v[10:11]
	s_wait_alu 0xfffd
	v_add_co_ci_u32_e32 v47, vcc_lo, s1, v45, vcc_lo
	v_cvt_f32_f64_e32 v6, v[12:13]
	v_cvt_f32_f64_e32 v7, v[14:15]
	;; [unrolled: 1-line block ×14, first 2 shown]
	v_add_co_u32 v20, vcc_lo, v46, s0
	s_wait_alu 0xfffd
	v_add_co_ci_u32_e32 v21, vcc_lo, s1, v47, vcc_lo
	s_delay_alu instid0(VALU_DEP_2) | instskip(SKIP_1) | instid1(VALU_DEP_2)
	v_add_co_u32 v22, vcc_lo, v20, s0
	s_wait_alu 0xfffd
	v_add_co_ci_u32_e32 v23, vcc_lo, s1, v21, vcc_lo
	s_delay_alu instid0(VALU_DEP_2) | instskip(SKIP_1) | instid1(VALU_DEP_2)
	;; [unrolled: 4-line block ×5, first 2 shown]
	v_add_co_u32 v30, vcc_lo, v28, s0
	s_wait_alu 0xfffd
	v_add_co_ci_u32_e32 v31, vcc_lo, s1, v29, vcc_lo
	s_clause 0x4
	global_store_b64 v[40:41], v[0:1], off
	global_store_b64 v[42:43], v[2:3], off
	;; [unrolled: 1-line block ×10, first 2 shown]
.LBB0_15:
	s_nop 0
	s_sendmsg sendmsg(MSG_DEALLOC_VGPRS)
	s_endpgm
	.section	.rodata,"a",@progbits
	.p2align	6, 0x0
	.amdhsa_kernel bluestein_single_fwd_len490_dim1_sp_op_CI_CI
		.amdhsa_group_segment_fixed_size 11760
		.amdhsa_private_segment_fixed_size 0
		.amdhsa_kernarg_size 104
		.amdhsa_user_sgpr_count 2
		.amdhsa_user_sgpr_dispatch_ptr 0
		.amdhsa_user_sgpr_queue_ptr 0
		.amdhsa_user_sgpr_kernarg_segment_ptr 1
		.amdhsa_user_sgpr_dispatch_id 0
		.amdhsa_user_sgpr_private_segment_size 0
		.amdhsa_wavefront_size32 1
		.amdhsa_uses_dynamic_stack 0
		.amdhsa_enable_private_segment 0
		.amdhsa_system_sgpr_workgroup_id_x 1
		.amdhsa_system_sgpr_workgroup_id_y 0
		.amdhsa_system_sgpr_workgroup_id_z 0
		.amdhsa_system_sgpr_workgroup_info 0
		.amdhsa_system_vgpr_workitem_id 0
		.amdhsa_next_free_vgpr 104
		.amdhsa_next_free_sgpr 16
		.amdhsa_reserve_vcc 1
		.amdhsa_float_round_mode_32 0
		.amdhsa_float_round_mode_16_64 0
		.amdhsa_float_denorm_mode_32 3
		.amdhsa_float_denorm_mode_16_64 3
		.amdhsa_fp16_overflow 0
		.amdhsa_workgroup_processor_mode 1
		.amdhsa_memory_ordered 1
		.amdhsa_forward_progress 0
		.amdhsa_round_robin_scheduling 0
		.amdhsa_exception_fp_ieee_invalid_op 0
		.amdhsa_exception_fp_denorm_src 0
		.amdhsa_exception_fp_ieee_div_zero 0
		.amdhsa_exception_fp_ieee_overflow 0
		.amdhsa_exception_fp_ieee_underflow 0
		.amdhsa_exception_fp_ieee_inexact 0
		.amdhsa_exception_int_div_zero 0
	.end_amdhsa_kernel
	.text
.Lfunc_end0:
	.size	bluestein_single_fwd_len490_dim1_sp_op_CI_CI, .Lfunc_end0-bluestein_single_fwd_len490_dim1_sp_op_CI_CI
                                        ; -- End function
	.section	.AMDGPU.csdata,"",@progbits
; Kernel info:
; codeLenInByte = 8416
; NumSgprs: 18
; NumVgprs: 104
; ScratchSize: 0
; MemoryBound: 0
; FloatMode: 240
; IeeeMode: 1
; LDSByteSize: 11760 bytes/workgroup (compile time only)
; SGPRBlocks: 2
; VGPRBlocks: 12
; NumSGPRsForWavesPerEU: 18
; NumVGPRsForWavesPerEU: 104
; Occupancy: 12
; WaveLimiterHint : 1
; COMPUTE_PGM_RSRC2:SCRATCH_EN: 0
; COMPUTE_PGM_RSRC2:USER_SGPR: 2
; COMPUTE_PGM_RSRC2:TRAP_HANDLER: 0
; COMPUTE_PGM_RSRC2:TGID_X_EN: 1
; COMPUTE_PGM_RSRC2:TGID_Y_EN: 0
; COMPUTE_PGM_RSRC2:TGID_Z_EN: 0
; COMPUTE_PGM_RSRC2:TIDIG_COMP_CNT: 0
	.text
	.p2alignl 7, 3214868480
	.fill 96, 4, 3214868480
	.type	__hip_cuid_53127d980c357542,@object ; @__hip_cuid_53127d980c357542
	.section	.bss,"aw",@nobits
	.globl	__hip_cuid_53127d980c357542
__hip_cuid_53127d980c357542:
	.byte	0                               ; 0x0
	.size	__hip_cuid_53127d980c357542, 1

	.ident	"AMD clang version 19.0.0git (https://github.com/RadeonOpenCompute/llvm-project roc-6.4.0 25133 c7fe45cf4b819c5991fe208aaa96edf142730f1d)"
	.section	".note.GNU-stack","",@progbits
	.addrsig
	.addrsig_sym __hip_cuid_53127d980c357542
	.amdgpu_metadata
---
amdhsa.kernels:
  - .args:
      - .actual_access:  read_only
        .address_space:  global
        .offset:         0
        .size:           8
        .value_kind:     global_buffer
      - .actual_access:  read_only
        .address_space:  global
        .offset:         8
        .size:           8
        .value_kind:     global_buffer
      - .actual_access:  read_only
        .address_space:  global
        .offset:         16
        .size:           8
        .value_kind:     global_buffer
      - .actual_access:  read_only
        .address_space:  global
        .offset:         24
        .size:           8
        .value_kind:     global_buffer
      - .actual_access:  read_only
        .address_space:  global
        .offset:         32
        .size:           8
        .value_kind:     global_buffer
      - .offset:         40
        .size:           8
        .value_kind:     by_value
      - .address_space:  global
        .offset:         48
        .size:           8
        .value_kind:     global_buffer
      - .address_space:  global
        .offset:         56
        .size:           8
        .value_kind:     global_buffer
      - .address_space:  global
        .offset:         64
        .size:           8
        .value_kind:     global_buffer
      - .address_space:  global
        .offset:         72
        .size:           8
        .value_kind:     global_buffer
      - .offset:         80
        .size:           4
        .value_kind:     by_value
      - .address_space:  global
        .offset:         88
        .size:           8
        .value_kind:     global_buffer
      - .address_space:  global
        .offset:         96
        .size:           8
        .value_kind:     global_buffer
    .group_segment_fixed_size: 11760
    .kernarg_segment_align: 8
    .kernarg_segment_size: 104
    .language:       OpenCL C
    .language_version:
      - 2
      - 0
    .max_flat_workgroup_size: 210
    .name:           bluestein_single_fwd_len490_dim1_sp_op_CI_CI
    .private_segment_fixed_size: 0
    .sgpr_count:     18
    .sgpr_spill_count: 0
    .symbol:         bluestein_single_fwd_len490_dim1_sp_op_CI_CI.kd
    .uniform_work_group_size: 1
    .uses_dynamic_stack: false
    .vgpr_count:     104
    .vgpr_spill_count: 0
    .wavefront_size: 32
    .workgroup_processor_mode: 1
amdhsa.target:   amdgcn-amd-amdhsa--gfx1201
amdhsa.version:
  - 1
  - 2
...

	.end_amdgpu_metadata
